;; amdgpu-corpus repo=zjin-lcf/HeCBench kind=compiled arch=gfx1250 opt=O3
	.amdgcn_target "amdgcn-amd-amdhsa--gfx1250"
	.amdhsa_code_object_version 6
	.text
	.protected	_Z14zoom_in_kernelPKfPfiiiimiiii ; -- Begin function _Z14zoom_in_kernelPKfPfiiiimiiii
	.globl	_Z14zoom_in_kernelPKfPfiiiimiiii
	.p2align	8
	.type	_Z14zoom_in_kernelPKfPfiiiimiiii,@function
_Z14zoom_in_kernelPKfPfiiiimiiii:       ; @_Z14zoom_in_kernelPKfPfiiiimiiii
; %bb.0:
	s_load_b256 s[4:11], s[0:1], 0x0
	s_bfe_u32 s2, ttmp6, 0x40014
	s_lshr_b32 s3, ttmp7, 16
	s_add_co_i32 s2, s2, 1
	s_bfe_u32 s12, ttmp6, 0x40008
	s_mul_i32 s2, s3, s2
	s_getreg_b32 s13, hwreg(HW_REG_IB_STS2, 6, 4)
	s_add_co_i32 s12, s12, s2
	s_cmp_eq_u32 s13, 0
	s_load_b32 s15, s[0:1], 0x44
	s_cselect_b32 s12, s3, s12
	s_bfe_u32 s2, ttmp6, 0x4000c
	s_and_b32 s3, ttmp6, 15
	s_add_co_i32 s2, s2, 1
	s_delay_alu instid0(SALU_CYCLE_1) | instskip(NEXT) | instid1(SALU_CYCLE_1)
	s_mul_i32 s2, ttmp9, s2
	s_add_co_i32 s3, s3, s2
	s_cmp_eq_u32 s13, 0
	s_cselect_b32 s23, ttmp9, s3
	s_wait_kmcnt 0x0
	s_cvt_f32_i32 s18, s8
	s_cvt_f32_i32 s19, s10
	;; [unrolled: 1-line block ×4, first 2 shown]
	s_bfe_u32 s14, ttmp6, 0x40010
	v_div_scale_f32 v1, null, s19, s19, s18
	s_delay_alu instid0(SALU_CYCLE_1) | instskip(SKIP_1) | instid1(VALU_DEP_3)
	v_div_scale_f32 v2, null, s21, s21, s20
	v_div_scale_f32 v7, vcc_lo, s18, s19, s18
	v_rcp_f32_e32 v3, v1
	v_nop
	v_xor_b32_e32 v1, 0x80000000, v1
	v_rcp_f32_e32 v4, v2
	v_nop
	v_xor_b32_e32 v2, 0x80000000, v2
	s_and_b32 s3, ttmp7, 0xffff
	s_add_co_i32 s14, s14, 1
	s_bfe_u32 s16, ttmp6, 0x40004
	v_fma_f32 v5, v1, v3, 1.0
	s_mul_i32 s14, s3, s14
	v_fma_f32 v6, v2, v4, 1.0
	s_add_co_i32 s14, s16, s14
	s_cmp_eq_u32 s13, 0
	v_fmac_f32_e32 v3, v5, v3
	v_div_scale_f32 v5, s2, s20, s21, s20
	v_fmac_f32_e32 v4, v6, v4
	s_load_b64 s[16:17], s[0:1], 0x20
	s_delay_alu instid0(VALU_DEP_3)
	v_mul_f32_e32 v6, v7, v3
	s_cselect_b32 s22, s3, s14
	s_lshr_b32 s14, s15, 16
	v_mul_f32_e32 v8, v5, v4
	s_mul_i32 s22, s22, s14
	v_fma_f32 v9, v1, v6, v7
	s_and_b32 s15, s15, 0xffff
	s_cvt_f32_i32 s3, s22
	v_fma_f32 v10, v2, v8, v5
	s_mul_i32 s23, s23, s15
	v_fmac_f32_e32 v6, v9, v3
	s_add_co_i32 s13, s23, s15
	s_delay_alu instid0(VALU_DEP_2) | instskip(SKIP_1) | instid1(VALU_DEP_1)
	v_fmac_f32_e32 v8, v10, v4
	s_cvt_f32_i32 s13, s13
	v_dual_fmac_f32 v7, v1, v6 :: v_dual_fmac_f32 v5, v2, v8
	s_delay_alu instid0(VALU_DEP_1) | instskip(SKIP_2) | instid1(VALU_DEP_2)
	v_div_fmas_f32 v1, v7, v3, v6
	s_mov_b32 vcc_lo, s2
	s_add_co_i32 s2, s22, s14
	v_div_fmas_f32 v2, v5, v4, v8
	s_cvt_f32_i32 s2, s2
	v_div_fixup_f32 v5, v1, s19, s18
	v_bfe_u32 v7, v0, 10, 10
	v_and_b32_e32 v8, 0x3ff, v0
	v_div_fixup_f32 v6, v2, s21, s20
	s_delay_alu instid0(VALU_DEP_4) | instskip(SKIP_1) | instid1(VALU_DEP_2)
	v_dual_mul_f32 v1, s3, v5 :: v_dual_mul_f32 v2, s2, v5
	s_cvt_f32_i32 s2, s23
	v_readfirstlane_b32 s3, v6
	s_delay_alu instid0(VALU_DEP_2) | instskip(NEXT) | instid1(VALU_DEP_3)
	v_floor_f32_e32 v1, v1
	v_ceil_f32_e32 v2, v2
	s_mul_f32 s2, s3, s2
	s_mul_f32 s3, s3, s13
	s_delay_alu instid0(VALU_DEP_2) | instskip(NEXT) | instid1(VALU_DEP_2)
	v_cvt_i32_f32_e32 v4, v1
	v_cvt_i32_f32_e32 v1, v2
	s_floor_f32 s2, s2
	s_ceil_f32 s3, s3
	s_mov_b32 s13, 0
	s_delay_alu instid0(SALU_CYCLE_1) | instskip(NEXT) | instid1(SALU_CYCLE_1)
	s_cvt_i32_f32 s18, s2
	s_cvt_i32_f32 s20, s3
	v_sub_nc_u32_e32 v9, v1, v4
	s_wait_kmcnt 0x0
	s_mul_u64 s[16:17], s[16:17], s[12:13]
	s_mov_b32 s12, exec_lo
	s_sub_co_i32 s21, s20, s18
	v_cmpx_lt_i32_e64 v7, v9
	s_cbranch_execz .LBB0_8
; %bb.1:
	v_mul_lo_u32 v0, v7, s21
	v_dual_lshlrev_b32 v1, 2, v8 :: v_dual_mov_b32 v11, v7
	s_ashr_i32 s19, s18, 31
	s_lshl_b64 s[2:3], s[16:17], 2
	s_mul_i32 s24, s21, s14
	s_add_nc_u64 s[2:3], s[4:5], s[2:3]
	s_lshl_b64 s[4:5], s[18:19], 2
	s_lshl_b32 s19, s24, 2
	s_add_nc_u64 s[4:5], s[2:3], s[4:5]
	s_lshl_b32 s24, s15, 2
	s_delay_alu instid0(VALU_DEP_2) | instskip(SKIP_1) | instid1(VALU_DEP_2)
	v_lshlrev_b32_e32 v0, 2, v0
	v_cmp_gt_i32_e32 vcc_lo, s21, v8
	v_add3_u32 v10, v0, v1, 0
	s_branch .LBB0_3
.LBB0_2:                                ;   in Loop: Header=BB0_3 Depth=1
	s_or_b32 exec_lo, exec_lo, s25
	v_dual_add_nc_u32 v11, s14, v11 :: v_dual_add_nc_u32 v10, s19, v10
	s_delay_alu instid0(VALU_DEP_1) | instskip(SKIP_1) | instid1(SALU_CYCLE_1)
	v_cmp_ge_i32_e64 s2, v11, v9
	s_or_b32 s13, s2, s13
	s_and_not1_b32 exec_lo, exec_lo, s13
	s_cbranch_execz .LBB0_8
.LBB0_3:                                ; =>This Loop Header: Depth=1
                                        ;     Child Loop BB0_6 Depth 2
	s_and_saveexec_b32 s25, vcc_lo
	s_cbranch_execz .LBB0_2
; %bb.4:                                ;   in Loop: Header=BB0_3 Depth=1
	s_delay_alu instid0(VALU_DEP_1) | instskip(SKIP_1) | instid1(VALU_DEP_1)
	v_dual_add_nc_u32 v2, v11, v4 :: v_dual_mov_b32 v12, v10
	s_mov_b32 s26, 0
	v_mul_lo_u32 v0, v2, s9
	v_cmp_gt_i32_e64 s2, s8, v2
	s_delay_alu instid0(VALU_DEP_2) | instskip(NEXT) | instid1(VALU_DEP_1)
	v_dual_mov_b32 v2, v8 :: v_dual_ashrrev_i32 v1, 31, v0
	v_lshl_add_u64 v[0:1], v[0:1], 2, s[4:5]
	s_branch .LBB0_6
.LBB0_5:                                ;   in Loop: Header=BB0_6 Depth=2
	s_wait_xcnt 0x0
	s_or_b32 exec_lo, exec_lo, s3
	v_add_nc_u32_e32 v2, s15, v2
	s_wait_loadcnt 0x0
	ds_store_b32 v12, v3
	v_add_nc_u32_e32 v12, s24, v12
	v_cmp_le_i32_e64 s3, s21, v2
	s_or_b32 s26, s3, s26
	s_delay_alu instid0(SALU_CYCLE_1)
	s_and_not1_b32 exec_lo, exec_lo, s26
	s_cbranch_execz .LBB0_2
.LBB0_6:                                ;   Parent Loop BB0_3 Depth=1
                                        ; =>  This Inner Loop Header: Depth=2
	s_delay_alu instid0(VALU_DEP_2) | instskip(NEXT) | instid1(VALU_DEP_1)
	v_add_nc_u32_e32 v3, s18, v2
	v_cmp_gt_i32_e64 s3, s9, v3
	v_mov_b32_e32 v3, 0
	s_and_b32 s27, s2, s3
	s_delay_alu instid0(SALU_CYCLE_1)
	s_and_saveexec_b32 s3, s27
	s_cbranch_execz .LBB0_5
; %bb.7:                                ;   in Loop: Header=BB0_6 Depth=2
	v_ashrrev_i32_e32 v3, 31, v2
	s_delay_alu instid0(VALU_DEP_1)
	v_lshl_add_u64 v[14:15], v[2:3], 2, v[0:1]
	global_load_b32 v3, v[14:15], off
	s_branch .LBB0_5
.LBB0_8:
	s_or_b32 exec_lo, exec_lo, s12
	s_load_b128 s[12:15], s[0:1], 0x28
	v_dual_add_nc_u32 v1, s22, v7 :: v_dual_add_nc_u32 v0, s23, v8
	s_wait_dscnt 0x0
	s_barrier_signal -1
	s_barrier_wait -1
	s_delay_alu instid0(VALU_DEP_1)
	v_cmp_gt_i32_e32 vcc_lo, s10, v1
	s_wait_xcnt 0x0
	v_cmp_gt_i32_e64 s0, s11, v0
	s_and_b32 s0, vcc_lo, s0
	s_wait_kmcnt 0x0
	v_cmp_le_i32_e64 s1, s12, v1
	v_cmp_gt_i32_e64 s2, s13, v1
	v_cmp_le_i32_e32 vcc_lo, s14, v0
	s_and_b32 s1, s1, s0
	v_cmp_gt_i32_e64 s0, s15, v0
	s_and_b32 s1, s2, s1
	s_delay_alu instid0(SALU_CYCLE_1) | instskip(NEXT) | instid1(SALU_CYCLE_1)
	s_and_b32 s1, vcc_lo, s1
	s_and_b32 s0, s0, s1
	s_delay_alu instid0(SALU_CYCLE_1)
	s_and_saveexec_b32 s1, s0
	s_cbranch_execz .LBB0_18
; %bb.9:
	v_dual_add_nc_u32 v2, 1, v1 :: v_dual_add_nc_u32 v7, 1, v0
	v_cvt_f32_i32_e32 v3, v1
	v_cvt_f32_i32_e32 v8, v0
	s_mov_b32 s2, 0
	s_delay_alu instid0(VALU_DEP_3) | instskip(SKIP_3) | instid1(VALU_DEP_3)
	v_cvt_f32_i32_e32 v2, v2
	v_cvt_f32_i32_e32 v7, v7
	v_mul_f32_e32 v3, v5, v3
	s_mov_b32 s1, exec_lo
	v_dual_mul_f32 v2, v5, v2 :: v_dual_mul_f32 v5, v6, v8
	s_delay_alu instid0(VALU_DEP_3) | instskip(NEXT) | instid1(VALU_DEP_3)
	v_mul_f32_e32 v7, v6, v7
	v_floor_f32_e32 v3, v3
	s_delay_alu instid0(VALU_DEP_3) | instskip(NEXT) | instid1(VALU_DEP_4)
	v_ceil_f32_e32 v2, v2
	v_floor_f32_e32 v5, v5
	s_delay_alu instid0(VALU_DEP_3) | instskip(SKIP_1) | instid1(VALU_DEP_4)
	v_cvt_i32_f32_e32 v6, v3
	v_ceil_f32_e32 v3, v7
	v_cvt_i32_f32_e32 v2, v2
	s_delay_alu instid0(VALU_DEP_4) | instskip(NEXT) | instid1(VALU_DEP_3)
	v_cvt_i32_f32_e32 v7, v5
	v_cvt_i32_f32_e32 v5, v3
	s_delay_alu instid0(VALU_DEP_3) | instskip(NEXT) | instid1(VALU_DEP_2)
	v_dual_mov_b32 v2, 0 :: v_dual_sub_nc_u32 v3, v2, v6
	v_sub_nc_u32_e32 v5, v5, v7
	s_delay_alu instid0(VALU_DEP_2)
	v_cmpx_lt_i32_e32 0, v3
	s_cbranch_execz .LBB0_17
; %bb.10:
	v_dual_sub_nc_u32 v2, v6, v4 :: v_dual_lshlrev_b32 v4, 2, v7
	s_lshl_b32 s0, s18, 2
	s_lshl_b32 s3, s20, 2
	s_mov_b32 s4, 0
	s_delay_alu instid0(VALU_DEP_1) | instskip(SKIP_2) | instid1(VALU_DEP_2)
	v_mul_lo_u32 v2, v2, s21
	s_sub_co_i32 s3, s3, s0
	v_cmp_lt_i32_e32 vcc_lo, 0, v5
	v_lshl_add_u32 v2, v2, 2, v4
	s_delay_alu instid0(VALU_DEP_1) | instskip(NEXT) | instid1(VALU_DEP_1)
	v_subrev_nc_u32_e32 v2, s0, v2
	v_dual_add_nc_u32 v4, 0, v2 :: v_dual_mov_b32 v2, 0
	s_branch .LBB0_12
.LBB0_11:                               ;   in Loop: Header=BB0_12 Depth=1
	s_or_b32 exec_lo, exec_lo, s5
	s_add_co_i32 s4, s4, 1
	v_add_nc_u32_e32 v4, s3, v4
	v_cmp_ge_i32_e64 s0, s4, v3
	s_or_b32 s2, s0, s2
	s_delay_alu instid0(SALU_CYCLE_1)
	s_and_not1_b32 exec_lo, exec_lo, s2
	s_cbranch_execz .LBB0_16
.LBB0_12:                               ; =>This Loop Header: Depth=1
                                        ;     Child Loop BB0_14 Depth 2
	s_and_saveexec_b32 s5, vcc_lo
	s_cbranch_execz .LBB0_11
; %bb.13:                               ;   in Loop: Header=BB0_12 Depth=1
	s_delay_alu instid0(VALU_DEP_1)
	v_mov_b32_e32 v6, v4
	s_mov_b32 s8, 0
	s_mov_b32 s10, 0
.LBB0_14:                               ;   Parent Loop BB0_12 Depth=1
                                        ; =>  This Inner Loop Header: Depth=2
	ds_load_b32 v7, v6
	s_add_co_i32 s10, s10, 1
	v_add_nc_u32_e32 v6, 4, v6
	v_cmp_ge_i32_e64 s0, s10, v5
	s_or_b32 s8, s0, s8
	s_wait_dscnt 0x0
	v_add_f32_e32 v2, v2, v7
	s_and_not1_b32 exec_lo, exec_lo, s8
	s_cbranch_execnz .LBB0_14
; %bb.15:                               ;   in Loop: Header=BB0_12 Depth=1
	s_or_b32 exec_lo, exec_lo, s8
	s_branch .LBB0_11
.LBB0_16:
	s_or_b32 exec_lo, exec_lo, s2
.LBB0_17:
	s_delay_alu instid0(SALU_CYCLE_1) | instskip(NEXT) | instid1(VALU_DEP_2)
	s_or_b32 exec_lo, exec_lo, s1
	v_mul_lo_u32 v3, v5, v3
	v_subrev_nc_u32_e32 v1, s12, v1
	v_subrev_nc_u32_e32 v0, s14, v0
	s_lshl_b64 s[0:1], s[16:17], 2
	s_delay_alu instid0(SALU_CYCLE_1) | instskip(NEXT) | instid1(VALU_DEP_3)
	s_add_nc_u64 s[0:1], s[6:7], s[0:1]
	v_cvt_f32_i32_e32 v3, v3
	s_delay_alu instid0(VALU_DEP_1) | instskip(SKIP_1) | instid1(VALU_DEP_2)
	v_div_scale_f32 v5, null, v3, v3, v2
	v_div_scale_f32 v7, vcc_lo, v2, v3, v2
	v_rcp_f32_e32 v6, v5
	v_nop
	s_delay_alu instid0(TRANS32_DEP_1) | instskip(NEXT) | instid1(VALU_DEP_1)
	v_fma_f32 v4, -v5, v6, 1.0
	v_fmac_f32_e32 v6, v4, v6
	v_mul_lo_u32 v4, v1, s9
	s_delay_alu instid0(VALU_DEP_2) | instskip(NEXT) | instid1(VALU_DEP_1)
	v_mul_f32_e32 v8, v7, v6
	v_fma_f32 v1, -v5, v8, v7
	s_delay_alu instid0(VALU_DEP_1) | instskip(NEXT) | instid1(VALU_DEP_1)
	v_dual_fmac_f32 v8, v1, v6 :: v_dual_ashrrev_i32 v1, 31, v0
	v_fma_f32 v7, -v5, v8, v7
	v_ashrrev_i32_e32 v5, 31, v4
	s_delay_alu instid0(VALU_DEP_2) | instskip(NEXT) | instid1(VALU_DEP_2)
	v_div_fmas_f32 v6, v7, v6, v8
	v_lshl_add_u64 v[4:5], v[4:5], 2, s[0:1]
	s_delay_alu instid0(VALU_DEP_2) | instskip(NEXT) | instid1(VALU_DEP_2)
	v_div_fixup_f32 v2, v6, v3, v2
	v_lshl_add_u64 v[0:1], v[0:1], 2, v[4:5]
	global_store_b32 v[0:1], v2, off
.LBB0_18:
	s_endpgm
	.section	.rodata,"a",@progbits
	.p2align	6, 0x0
	.amdhsa_kernel _Z14zoom_in_kernelPKfPfiiiimiiii
		.amdhsa_group_segment_fixed_size 0
		.amdhsa_private_segment_fixed_size 0
		.amdhsa_kernarg_size 312
		.amdhsa_user_sgpr_count 2
		.amdhsa_user_sgpr_dispatch_ptr 0
		.amdhsa_user_sgpr_queue_ptr 0
		.amdhsa_user_sgpr_kernarg_segment_ptr 1
		.amdhsa_user_sgpr_dispatch_id 0
		.amdhsa_user_sgpr_kernarg_preload_length 0
		.amdhsa_user_sgpr_kernarg_preload_offset 0
		.amdhsa_user_sgpr_private_segment_size 0
		.amdhsa_wavefront_size32 1
		.amdhsa_uses_dynamic_stack 0
		.amdhsa_enable_private_segment 0
		.amdhsa_system_sgpr_workgroup_id_x 1
		.amdhsa_system_sgpr_workgroup_id_y 1
		.amdhsa_system_sgpr_workgroup_id_z 1
		.amdhsa_system_sgpr_workgroup_info 0
		.amdhsa_system_vgpr_workitem_id 1
		.amdhsa_next_free_vgpr 16
		.amdhsa_next_free_sgpr 28
		.amdhsa_named_barrier_count 0
		.amdhsa_reserve_vcc 1
		.amdhsa_float_round_mode_32 0
		.amdhsa_float_round_mode_16_64 0
		.amdhsa_float_denorm_mode_32 3
		.amdhsa_float_denorm_mode_16_64 3
		.amdhsa_fp16_overflow 0
		.amdhsa_memory_ordered 1
		.amdhsa_forward_progress 1
		.amdhsa_inst_pref_size 12
		.amdhsa_round_robin_scheduling 0
		.amdhsa_exception_fp_ieee_invalid_op 0
		.amdhsa_exception_fp_denorm_src 0
		.amdhsa_exception_fp_ieee_div_zero 0
		.amdhsa_exception_fp_ieee_overflow 0
		.amdhsa_exception_fp_ieee_underflow 0
		.amdhsa_exception_fp_ieee_inexact 0
		.amdhsa_exception_int_div_zero 0
	.end_amdhsa_kernel
	.text
.Lfunc_end0:
	.size	_Z14zoom_in_kernelPKfPfiiiimiiii, .Lfunc_end0-_Z14zoom_in_kernelPKfPfiiiimiiii
                                        ; -- End function
	.set _Z14zoom_in_kernelPKfPfiiiimiiii.num_vgpr, 16
	.set _Z14zoom_in_kernelPKfPfiiiimiiii.num_agpr, 0
	.set _Z14zoom_in_kernelPKfPfiiiimiiii.numbered_sgpr, 28
	.set _Z14zoom_in_kernelPKfPfiiiimiiii.num_named_barrier, 0
	.set _Z14zoom_in_kernelPKfPfiiiimiiii.private_seg_size, 0
	.set _Z14zoom_in_kernelPKfPfiiiimiiii.uses_vcc, 1
	.set _Z14zoom_in_kernelPKfPfiiiimiiii.uses_flat_scratch, 0
	.set _Z14zoom_in_kernelPKfPfiiiimiiii.has_dyn_sized_stack, 0
	.set _Z14zoom_in_kernelPKfPfiiiimiiii.has_recursion, 0
	.set _Z14zoom_in_kernelPKfPfiiiimiiii.has_indirect_call, 0
	.section	.AMDGPU.csdata,"",@progbits
; Kernel info:
; codeLenInByte = 1456
; TotalNumSgprs: 30
; NumVgprs: 16
; ScratchSize: 0
; MemoryBound: 0
; FloatMode: 240
; IeeeMode: 1
; LDSByteSize: 0 bytes/workgroup (compile time only)
; SGPRBlocks: 0
; VGPRBlocks: 0
; NumSGPRsForWavesPerEU: 30
; NumVGPRsForWavesPerEU: 16
; NamedBarCnt: 0
; Occupancy: 16
; WaveLimiterHint : 0
; COMPUTE_PGM_RSRC2:SCRATCH_EN: 0
; COMPUTE_PGM_RSRC2:USER_SGPR: 2
; COMPUTE_PGM_RSRC2:TRAP_HANDLER: 0
; COMPUTE_PGM_RSRC2:TGID_X_EN: 1
; COMPUTE_PGM_RSRC2:TGID_Y_EN: 1
; COMPUTE_PGM_RSRC2:TGID_Z_EN: 1
; COMPUTE_PGM_RSRC2:TIDIG_COMP_CNT: 1
	.text
	.protected	_Z15zoom_out_kernelPKfPfiiiimiiii ; -- Begin function _Z15zoom_out_kernelPKfPfiiiimiiii
	.globl	_Z15zoom_out_kernelPKfPfiiiimiiii
	.p2align	8
	.type	_Z15zoom_out_kernelPKfPfiiiimiiii,@function
_Z15zoom_out_kernelPKfPfiiiimiiii:      ; @_Z15zoom_out_kernelPKfPfiiiimiiii
; %bb.0:
	s_load_b256 s[4:11], s[0:1], 0x0
	s_bfe_u32 s2, ttmp6, 0x40014
	s_lshr_b32 s3, ttmp7, 16
	s_add_co_i32 s2, s2, 1
	s_bfe_u32 s12, ttmp6, 0x40008
	s_mul_i32 s2, s3, s2
	s_getreg_b32 s13, hwreg(HW_REG_IB_STS2, 6, 4)
	s_add_co_i32 s12, s12, s2
	s_cmp_eq_u32 s13, 0
	s_load_b32 s19, s[0:1], 0x44
	s_cselect_b32 s14, s3, s12
	s_bfe_u32 s2, ttmp6, 0x4000c
	s_and_b32 s3, ttmp6, 15
	s_add_co_i32 s2, s2, 1
	s_mov_b32 s23, exec_lo
	s_mul_i32 s2, ttmp9, s2
	s_delay_alu instid0(SALU_CYCLE_1)
	s_add_co_i32 s3, s3, s2
	s_cmp_eq_u32 s13, 0
	s_cselect_b32 s20, ttmp9, s3
	s_wait_kmcnt 0x0
	s_cvt_f32_i32 s15, s8
	s_cvt_f32_i32 s16, s10
	;; [unrolled: 1-line block ×4, first 2 shown]
	s_bfe_u32 s12, ttmp6, 0x40010
	v_div_scale_f32 v1, null, s16, s16, s15
	s_delay_alu instid0(SALU_CYCLE_1) | instskip(SKIP_1) | instid1(VALU_DEP_3)
	v_div_scale_f32 v2, null, s18, s18, s17
	v_div_scale_f32 v7, vcc_lo, s15, s16, s15
	v_rcp_f32_e32 v3, v1
	v_nop
	v_xor_b32_e32 v1, 0x80000000, v1
	v_rcp_f32_e32 v4, v2
	v_nop
	v_xor_b32_e32 v2, 0x80000000, v2
	s_and_b32 s3, ttmp7, 0xffff
	s_add_co_i32 s12, s12, 1
	s_bfe_u32 s21, ttmp6, 0x40004
	v_fma_f32 v5, v1, v3, 1.0
	s_mul_i32 s12, s3, s12
	v_fma_f32 v6, v2, v4, 1.0
	s_add_co_i32 s21, s21, s12
	s_cmp_eq_u32 s13, 0
	v_fmac_f32_e32 v3, v5, v3
	v_div_scale_f32 v5, s2, s17, s18, s17
	v_fmac_f32_e32 v4, v6, v4
	s_load_b64 s[12:13], s[0:1], 0x20
	s_delay_alu instid0(VALU_DEP_3)
	v_mul_f32_e32 v6, v7, v3
	s_cselect_b32 s3, s3, s21
	s_lshr_b32 s21, s19, 16
	v_mul_f32_e32 v8, v5, v4
	s_and_b32 s22, s19, 0xffff
	v_fma_f32 v9, v1, v6, v7
	s_mul_i32 s19, s3, s21
	s_mul_i32 s20, s20, s22
	v_fma_f32 v10, v2, v8, v5
	s_cvt_f32_i32 s3, s19
	s_delay_alu instid0(VALU_DEP_1) | instskip(NEXT) | instid1(VALU_DEP_1)
	v_dual_fmac_f32 v6, v9, v3 :: v_dual_fmac_f32 v8, v10, v4
	v_dual_fmac_f32 v7, v1, v6 :: v_dual_fmac_f32 v5, v2, v8
	s_delay_alu instid0(VALU_DEP_1) | instskip(SKIP_2) | instid1(VALU_DEP_2)
	v_div_fmas_f32 v1, v7, v3, v6
	s_mov_b32 vcc_lo, s2
	s_add_co_i32 s2, s19, s21
	v_div_fmas_f32 v2, v5, v4, v8
	s_cvt_f32_i32 s2, s2
	v_div_fixup_f32 v5, v1, s16, s15
	s_add_co_i32 s15, s20, s22
	v_bfe_u32 v7, v0, 10, 10
	v_div_fixup_f32 v6, v2, s18, s17
	s_cvt_f32_i32 s15, s15
	v_dual_mul_f32 v1, s3, v5 :: v_dual_mul_f32 v2, s2, v5
	s_cvt_f32_i32 s2, s20
	s_delay_alu instid0(VALU_DEP_2) | instskip(SKIP_1) | instid1(VALU_DEP_3)
	v_readfirstlane_b32 s3, v6
	v_and_b32_e32 v8, 0x3ff, v0
	v_floor_f32_e32 v1, v1
	v_ceil_f32_e32 v2, v2
	s_mul_f32 s2, s3, s2
	s_mul_f32 s3, s3, s15
	s_delay_alu instid0(VALU_DEP_2) | instskip(NEXT) | instid1(VALU_DEP_2)
	v_cvt_i32_f32_e32 v4, v1
	v_cvt_i32_f32_e32 v1, v2
	s_floor_f32 s2, s2
	s_ceil_f32 s3, s3
	s_mov_b32 s15, 0
	s_delay_alu instid0(SALU_CYCLE_1) | instskip(NEXT) | instid1(SALU_CYCLE_1)
	s_cvt_i32_f32 s16, s2
	s_cvt_i32_f32 s18, s3
	v_sub_nc_u32_e32 v9, v1, v4
	s_wait_kmcnt 0x0
	s_mul_u64 s[12:13], s[12:13], s[14:15]
	s_sub_co_i32 s14, s18, s16
	s_delay_alu instid0(VALU_DEP_1)
	v_cmpx_lt_i32_e64 v7, v9
	s_cbranch_execz .LBB1_8
; %bb.1:
	v_mul_lo_u32 v0, v7, s14
	v_dual_lshlrev_b32 v1, 2, v8 :: v_dual_mov_b32 v11, v7
	s_ashr_i32 s17, s16, 31
	s_lshl_b64 s[2:3], s[12:13], 2
	s_mul_i32 s24, s14, s21
	s_add_nc_u64 s[2:3], s[4:5], s[2:3]
	s_lshl_b64 s[4:5], s[16:17], 2
	s_lshl_b32 s17, s24, 2
	s_add_nc_u64 s[4:5], s[2:3], s[4:5]
	s_lshl_b32 s24, s22, 2
	s_delay_alu instid0(VALU_DEP_2) | instskip(SKIP_1) | instid1(VALU_DEP_2)
	v_lshlrev_b32_e32 v0, 2, v0
	v_cmp_gt_i32_e32 vcc_lo, s14, v8
	v_add3_u32 v10, v0, v1, 0
	s_branch .LBB1_3
.LBB1_2:                                ;   in Loop: Header=BB1_3 Depth=1
	s_or_b32 exec_lo, exec_lo, s25
	v_dual_add_nc_u32 v11, s21, v11 :: v_dual_add_nc_u32 v10, s17, v10
	s_delay_alu instid0(VALU_DEP_1) | instskip(SKIP_1) | instid1(SALU_CYCLE_1)
	v_cmp_ge_i32_e64 s2, v11, v9
	s_or_b32 s15, s2, s15
	s_and_not1_b32 exec_lo, exec_lo, s15
	s_cbranch_execz .LBB1_8
.LBB1_3:                                ; =>This Loop Header: Depth=1
                                        ;     Child Loop BB1_6 Depth 2
	s_and_saveexec_b32 s25, vcc_lo
	s_cbranch_execz .LBB1_2
; %bb.4:                                ;   in Loop: Header=BB1_3 Depth=1
	s_delay_alu instid0(VALU_DEP_1) | instskip(SKIP_1) | instid1(VALU_DEP_1)
	v_dual_add_nc_u32 v2, v11, v4 :: v_dual_mov_b32 v12, v10
	s_mov_b32 s26, 0
	v_mul_lo_u32 v0, v2, s9
	v_cmp_gt_i32_e64 s2, s8, v2
	s_delay_alu instid0(VALU_DEP_2) | instskip(NEXT) | instid1(VALU_DEP_1)
	v_dual_mov_b32 v2, v8 :: v_dual_ashrrev_i32 v1, 31, v0
	v_lshl_add_u64 v[0:1], v[0:1], 2, s[4:5]
	s_branch .LBB1_6
.LBB1_5:                                ;   in Loop: Header=BB1_6 Depth=2
	s_wait_xcnt 0x0
	s_or_b32 exec_lo, exec_lo, s3
	v_add_nc_u32_e32 v2, s22, v2
	s_wait_loadcnt 0x0
	ds_store_b32 v12, v3
	v_add_nc_u32_e32 v12, s24, v12
	v_cmp_le_i32_e64 s3, s14, v2
	s_or_b32 s26, s3, s26
	s_delay_alu instid0(SALU_CYCLE_1)
	s_and_not1_b32 exec_lo, exec_lo, s26
	s_cbranch_execz .LBB1_2
.LBB1_6:                                ;   Parent Loop BB1_3 Depth=1
                                        ; =>  This Inner Loop Header: Depth=2
	s_delay_alu instid0(VALU_DEP_2) | instskip(NEXT) | instid1(VALU_DEP_1)
	v_add_nc_u32_e32 v3, s16, v2
	v_cmp_gt_i32_e64 s3, s9, v3
	v_mov_b32_e32 v3, 0
	s_and_b32 s27, s2, s3
	s_delay_alu instid0(SALU_CYCLE_1)
	s_and_saveexec_b32 s3, s27
	s_cbranch_execz .LBB1_5
; %bb.7:                                ;   in Loop: Header=BB1_6 Depth=2
	v_ashrrev_i32_e32 v3, 31, v2
	s_delay_alu instid0(VALU_DEP_1)
	v_lshl_add_u64 v[14:15], v[2:3], 2, v[0:1]
	global_load_b32 v3, v[14:15], off
	s_branch .LBB1_5
.LBB1_8:
	s_or_b32 exec_lo, exec_lo, s23
	v_dual_add_nc_u32 v1, s19, v7 :: v_dual_add_nc_u32 v0, s20, v8
	s_wait_dscnt 0x0
	s_barrier_signal -1
	s_barrier_wait -1
	s_delay_alu instid0(VALU_DEP_1) | instskip(SKIP_2) | instid1(SALU_CYCLE_1)
	v_cmp_gt_i32_e32 vcc_lo, s10, v1
	v_cmp_gt_i32_e64 s2, s11, v0
	s_and_b32 s2, vcc_lo, s2
	s_and_saveexec_b32 s3, s2
	s_cbranch_execz .LBB1_18
; %bb.9:
	v_dual_add_nc_u32 v2, 1, v1 :: v_dual_add_nc_u32 v7, 1, v0
	v_cvt_f32_i32_e32 v3, v1
	v_cvt_f32_i32_e32 v8, v0
	s_mov_b32 s4, 0
	s_delay_alu instid0(VALU_DEP_3) | instskip(SKIP_3) | instid1(VALU_DEP_3)
	v_cvt_f32_i32_e32 v2, v2
	v_cvt_f32_i32_e32 v7, v7
	v_mul_f32_e32 v3, v5, v3
	s_mov_b32 s3, exec_lo
	v_dual_mul_f32 v2, v5, v2 :: v_dual_mul_f32 v5, v6, v8
	s_delay_alu instid0(VALU_DEP_3) | instskip(NEXT) | instid1(VALU_DEP_3)
	v_mul_f32_e32 v7, v6, v7
	v_floor_f32_e32 v3, v3
	s_delay_alu instid0(VALU_DEP_3) | instskip(NEXT) | instid1(VALU_DEP_4)
	v_ceil_f32_e32 v2, v2
	v_floor_f32_e32 v5, v5
	s_delay_alu instid0(VALU_DEP_3) | instskip(SKIP_1) | instid1(VALU_DEP_4)
	v_cvt_i32_f32_e32 v6, v3
	v_ceil_f32_e32 v3, v7
	v_cvt_i32_f32_e32 v2, v2
	s_delay_alu instid0(VALU_DEP_4) | instskip(NEXT) | instid1(VALU_DEP_3)
	v_cvt_i32_f32_e32 v7, v5
	v_cvt_i32_f32_e32 v5, v3
	s_delay_alu instid0(VALU_DEP_3) | instskip(NEXT) | instid1(VALU_DEP_2)
	v_dual_mov_b32 v2, 0 :: v_dual_sub_nc_u32 v3, v2, v6
	v_sub_nc_u32_e32 v5, v5, v7
	s_delay_alu instid0(VALU_DEP_2)
	v_cmpx_lt_i32_e32 0, v3
	s_cbranch_execz .LBB1_17
; %bb.10:
	v_dual_sub_nc_u32 v2, v6, v4 :: v_dual_lshlrev_b32 v4, 2, v7
	s_lshl_b32 s2, s16, 2
	s_lshl_b32 s5, s18, 2
	s_mov_b32 s8, 0
	s_delay_alu instid0(VALU_DEP_1) | instskip(SKIP_2) | instid1(VALU_DEP_2)
	v_mul_lo_u32 v2, v2, s14
	s_sub_co_i32 s5, s5, s2
	v_cmp_lt_i32_e32 vcc_lo, 0, v5
	v_lshl_add_u32 v2, v2, 2, v4
	s_delay_alu instid0(VALU_DEP_1) | instskip(NEXT) | instid1(VALU_DEP_1)
	v_subrev_nc_u32_e32 v2, s2, v2
	v_dual_add_nc_u32 v4, 0, v2 :: v_dual_mov_b32 v2, 0
	s_branch .LBB1_12
.LBB1_11:                               ;   in Loop: Header=BB1_12 Depth=1
	s_or_b32 exec_lo, exec_lo, s10
	s_add_co_i32 s8, s8, 1
	v_add_nc_u32_e32 v4, s5, v4
	v_cmp_ge_i32_e64 s2, s8, v3
	s_or_b32 s4, s2, s4
	s_delay_alu instid0(SALU_CYCLE_1)
	s_and_not1_b32 exec_lo, exec_lo, s4
	s_cbranch_execz .LBB1_16
.LBB1_12:                               ; =>This Loop Header: Depth=1
                                        ;     Child Loop BB1_14 Depth 2
	s_and_saveexec_b32 s10, vcc_lo
	s_cbranch_execz .LBB1_11
; %bb.13:                               ;   in Loop: Header=BB1_12 Depth=1
	s_delay_alu instid0(VALU_DEP_1)
	v_mov_b32_e32 v6, v4
	s_mov_b32 s11, 0
	s_mov_b32 s14, 0
.LBB1_14:                               ;   Parent Loop BB1_12 Depth=1
                                        ; =>  This Inner Loop Header: Depth=2
	ds_load_b32 v7, v6
	s_add_co_i32 s14, s14, 1
	v_add_nc_u32_e32 v6, 4, v6
	v_cmp_ge_i32_e64 s2, s14, v5
	s_or_b32 s11, s2, s11
	s_wait_dscnt 0x0
	v_add_f32_e32 v2, v2, v7
	s_and_not1_b32 exec_lo, exec_lo, s11
	s_cbranch_execnz .LBB1_14
; %bb.15:                               ;   in Loop: Header=BB1_12 Depth=1
	s_or_b32 exec_lo, exec_lo, s11
	s_branch .LBB1_11
.LBB1_16:
	s_or_b32 exec_lo, exec_lo, s4
.LBB1_17:
	s_delay_alu instid0(SALU_CYCLE_1) | instskip(NEXT) | instid1(VALU_DEP_2)
	s_or_b32 exec_lo, exec_lo, s3
	v_mul_lo_u32 v3, v5, v3
	s_clause 0x1
	s_load_b32 s2, s[0:1], 0x28
	s_load_b32 s3, s[0:1], 0x30
	s_wait_xcnt 0x0
	s_lshl_b64 s[0:1], s[12:13], 2
	s_delay_alu instid0(SALU_CYCLE_1) | instskip(NEXT) | instid1(VALU_DEP_1)
	s_add_nc_u64 s[0:1], s[6:7], s[0:1]
	v_cvt_f32_i32_e32 v3, v3
	s_delay_alu instid0(VALU_DEP_1) | instskip(SKIP_1) | instid1(VALU_DEP_2)
	v_div_scale_f32 v5, null, v3, v3, v2
	v_div_scale_f32 v7, vcc_lo, v2, v3, v2
	v_rcp_f32_e32 v6, v5
	s_wait_kmcnt 0x0
	v_dual_add_nc_u32 v1, s2, v1 :: v_dual_add_nc_u32 v0, s3, v0
	s_delay_alu instid0(TRANS32_DEP_1) | instskip(NEXT) | instid1(VALU_DEP_1)
	v_fma_f32 v4, -v5, v6, 1.0
	v_fmac_f32_e32 v6, v4, v6
	s_delay_alu instid0(VALU_DEP_3) | instskip(NEXT) | instid1(VALU_DEP_2)
	v_mul_lo_u32 v4, v1, s9
	v_mul_f32_e32 v8, v7, v6
	s_delay_alu instid0(VALU_DEP_1) | instskip(NEXT) | instid1(VALU_DEP_1)
	v_fma_f32 v1, -v5, v8, v7
	v_dual_fmac_f32 v8, v1, v6 :: v_dual_ashrrev_i32 v1, 31, v0
	s_delay_alu instid0(VALU_DEP_1) | instskip(SKIP_1) | instid1(VALU_DEP_2)
	v_fma_f32 v7, -v5, v8, v7
	v_ashrrev_i32_e32 v5, 31, v4
	v_div_fmas_f32 v6, v7, v6, v8
	s_delay_alu instid0(VALU_DEP_2) | instskip(NEXT) | instid1(VALU_DEP_2)
	v_lshl_add_u64 v[4:5], v[4:5], 2, s[0:1]
	v_div_fixup_f32 v2, v6, v3, v2
	s_delay_alu instid0(VALU_DEP_2)
	v_lshl_add_u64 v[0:1], v[0:1], 2, v[4:5]
	global_store_b32 v[0:1], v2, off
.LBB1_18:
	s_endpgm
	.section	.rodata,"a",@progbits
	.p2align	6, 0x0
	.amdhsa_kernel _Z15zoom_out_kernelPKfPfiiiimiiii
		.amdhsa_group_segment_fixed_size 0
		.amdhsa_private_segment_fixed_size 0
		.amdhsa_kernarg_size 312
		.amdhsa_user_sgpr_count 2
		.amdhsa_user_sgpr_dispatch_ptr 0
		.amdhsa_user_sgpr_queue_ptr 0
		.amdhsa_user_sgpr_kernarg_segment_ptr 1
		.amdhsa_user_sgpr_dispatch_id 0
		.amdhsa_user_sgpr_kernarg_preload_length 0
		.amdhsa_user_sgpr_kernarg_preload_offset 0
		.amdhsa_user_sgpr_private_segment_size 0
		.amdhsa_wavefront_size32 1
		.amdhsa_uses_dynamic_stack 0
		.amdhsa_enable_private_segment 0
		.amdhsa_system_sgpr_workgroup_id_x 1
		.amdhsa_system_sgpr_workgroup_id_y 1
		.amdhsa_system_sgpr_workgroup_id_z 1
		.amdhsa_system_sgpr_workgroup_info 0
		.amdhsa_system_vgpr_workitem_id 1
		.amdhsa_next_free_vgpr 16
		.amdhsa_next_free_sgpr 28
		.amdhsa_named_barrier_count 0
		.amdhsa_reserve_vcc 1
		.amdhsa_float_round_mode_32 0
		.amdhsa_float_round_mode_16_64 0
		.amdhsa_float_denorm_mode_32 3
		.amdhsa_float_denorm_mode_16_64 3
		.amdhsa_fp16_overflow 0
		.amdhsa_memory_ordered 1
		.amdhsa_forward_progress 1
		.amdhsa_inst_pref_size 12
		.amdhsa_round_robin_scheduling 0
		.amdhsa_exception_fp_ieee_invalid_op 0
		.amdhsa_exception_fp_denorm_src 0
		.amdhsa_exception_fp_ieee_div_zero 0
		.amdhsa_exception_fp_ieee_overflow 0
		.amdhsa_exception_fp_ieee_underflow 0
		.amdhsa_exception_fp_ieee_inexact 0
		.amdhsa_exception_int_div_zero 0
	.end_amdhsa_kernel
	.text
.Lfunc_end1:
	.size	_Z15zoom_out_kernelPKfPfiiiimiiii, .Lfunc_end1-_Z15zoom_out_kernelPKfPfiiiimiiii
                                        ; -- End function
	.set _Z15zoom_out_kernelPKfPfiiiimiiii.num_vgpr, 16
	.set _Z15zoom_out_kernelPKfPfiiiimiiii.num_agpr, 0
	.set _Z15zoom_out_kernelPKfPfiiiimiiii.numbered_sgpr, 28
	.set _Z15zoom_out_kernelPKfPfiiiimiiii.num_named_barrier, 0
	.set _Z15zoom_out_kernelPKfPfiiiimiiii.private_seg_size, 0
	.set _Z15zoom_out_kernelPKfPfiiiimiiii.uses_vcc, 1
	.set _Z15zoom_out_kernelPKfPfiiiimiiii.uses_flat_scratch, 0
	.set _Z15zoom_out_kernelPKfPfiiiimiiii.has_dyn_sized_stack, 0
	.set _Z15zoom_out_kernelPKfPfiiiimiiii.has_recursion, 0
	.set _Z15zoom_out_kernelPKfPfiiiimiiii.has_indirect_call, 0
	.section	.AMDGPU.csdata,"",@progbits
; Kernel info:
; codeLenInByte = 1424
; TotalNumSgprs: 30
; NumVgprs: 16
; ScratchSize: 0
; MemoryBound: 0
; FloatMode: 240
; IeeeMode: 1
; LDSByteSize: 0 bytes/workgroup (compile time only)
; SGPRBlocks: 0
; VGPRBlocks: 0
; NumSGPRsForWavesPerEU: 30
; NumVGPRsForWavesPerEU: 16
; NamedBarCnt: 0
; Occupancy: 16
; WaveLimiterHint : 0
; COMPUTE_PGM_RSRC2:SCRATCH_EN: 0
; COMPUTE_PGM_RSRC2:USER_SGPR: 2
; COMPUTE_PGM_RSRC2:TRAP_HANDLER: 0
; COMPUTE_PGM_RSRC2:TGID_X_EN: 1
; COMPUTE_PGM_RSRC2:TGID_Y_EN: 1
; COMPUTE_PGM_RSRC2:TGID_Z_EN: 1
; COMPUTE_PGM_RSRC2:TIDIG_COMP_CNT: 1
	.text
	.protected	_Z17zoom_out_edge_padPfiimiiii ; -- Begin function _Z17zoom_out_edge_padPfiimiiii
	.globl	_Z17zoom_out_edge_padPfiimiiii
	.p2align	8
	.type	_Z17zoom_out_edge_padPfiimiiii,@function
_Z17zoom_out_edge_padPfiimiiii:         ; @_Z17zoom_out_edge_padPfiimiiii
; %bb.0:
	s_clause 0x1
	s_load_b32 s2, s[0:1], 0x34
	s_load_b64 s[8:9], s[0:1], 0x8
	s_bfe_u32 s5, ttmp6, 0x4000c
	s_bfe_u32 s7, ttmp6, 0x40010
	s_and_b32 s6, ttmp7, 0xffff
	s_add_co_i32 s5, s5, 1
	s_add_co_i32 s7, s7, 1
	s_and_b32 s4, ttmp6, 15
	s_bfe_u32 s10, ttmp6, 0x40004
	s_mul_i32 s5, ttmp9, s5
	s_mul_i32 s7, s6, s7
	s_getreg_b32 s3, hwreg(HW_REG_IB_STS2, 6, 4)
	v_bfe_u32 v1, v0, 10, 10
	v_and_b32_e32 v0, 0x3ff, v0
	s_add_co_i32 s4, s4, s5
	s_add_co_i32 s10, s10, s7
	s_mov_b32 s15, 0
	s_wait_kmcnt 0x0
	s_lshr_b32 s5, s2, 16
	s_and_b32 s2, s2, 0xffff
	s_cmp_eq_u32 s3, 0
	s_cselect_b32 s6, s6, s10
	s_cselect_b32 s4, ttmp9, s4
	v_mad_u32 v6, s6, s5, v1
	v_mad_u32 v0, s4, s2, v0
	s_delay_alu instid0(VALU_DEP_2) | instskip(NEXT) | instid1(VALU_DEP_2)
	v_cmp_gt_i32_e32 vcc_lo, s8, v6
	v_cmp_gt_i32_e64 s2, s9, v0
	s_and_b32 s2, vcc_lo, s2
	s_delay_alu instid0(SALU_CYCLE_1)
	s_and_saveexec_b32 s4, s2
	s_cbranch_execz .LBB2_5
; %bb.1:
	s_clause 0x2
	s_load_b128 s[4:7], s[0:1], 0x18
	s_load_b64 s[12:13], s[0:1], 0x10
	s_load_b64 s[10:11], s[0:1], 0x0
	v_mul_lo_u32 v2, v6, s9
	s_wait_xcnt 0x0
	s_bfe_u32 s0, ttmp6, 0x40014
	s_lshr_b32 s1, ttmp7, 16
	s_add_co_i32 s0, s0, 1
	s_bfe_u32 s2, ttmp6, 0x40008
	s_mul_i32 s0, s1, s0
                                        ; implicit-def: $vgpr4_vgpr5
	v_ashrrev_i32_e32 v1, 31, v0
	s_add_co_i32 s2, s2, s0
	s_cmp_eq_u32 s3, 0
	s_cselect_b32 s14, s1, s2
	v_ashrrev_i32_e32 v3, 31, v2
	s_wait_kmcnt 0x0
	v_cmp_gt_i32_e64 s2, s4, v6
	v_cmp_gt_i32_e32 vcc_lo, s7, v0
	s_mul_u64 s[12:13], s[12:13], s[14:15]
	v_cmp_le_i32_e64 s1, s5, v0
	v_add_nc_u64_e32 v[2:3], s[12:13], v[2:3]
	v_cmp_gt_i32_e64 s3, s5, v0
	s_and_b32 s0, s2, vcc_lo
	s_delay_alu instid0(SALU_CYCLE_1) | instskip(NEXT) | instid1(SALU_CYCLE_1)
	s_and_b32 s0, s0, s1
	s_xor_b32 s0, s0, -1
	s_delay_alu instid0(SALU_CYCLE_1) | instskip(NEXT) | instid1(SALU_CYCLE_1)
	s_and_saveexec_b32 s8, s0
	s_xor_b32 s8, exec_lo, s8
	s_cbranch_execnz .LBB2_6
; %bb.2:
	s_and_not1_saveexec_b32 s0, s8
	s_cbranch_execnz .LBB2_33
.LBB2_3:
	s_or_b32 exec_lo, exec_lo, s0
	s_delay_alu instid0(SALU_CYCLE_1)
	s_and_b32 exec_lo, exec_lo, s15
	s_cbranch_execz .LBB2_5
.LBB2_4:
	global_load_b32 v1, v[4:5], off
	v_add_nc_u32_e32 v0, v0, v2
	s_wait_loadcnt 0x0
	global_store_b32 v0, v1, s[10:11] scale_offset
.LBB2_5:
	s_endpgm
.LBB2_6:
	v_cmp_gt_i32_e64 s0, s6, v6
                                        ; implicit-def: $vgpr4_vgpr5
	s_nor_b32 s14, s0, s3
	s_delay_alu instid0(SALU_CYCLE_1) | instskip(NEXT) | instid1(SALU_CYCLE_1)
	s_and_b32 s14, vcc_lo, s14
	s_xor_b32 s14, s14, -1
	s_delay_alu instid0(SALU_CYCLE_1) | instskip(NEXT) | instid1(SALU_CYCLE_1)
	s_and_saveexec_b32 s16, s14
	s_xor_b32 s14, exec_lo, s16
	s_cbranch_execz .LBB2_30
; %bb.7:
	s_xor_b32 s19, s2, -1
                                        ; implicit-def: $vgpr4_vgpr5
	s_delay_alu instid0(SALU_CYCLE_1) | instskip(NEXT) | instid1(SALU_CYCLE_1)
	s_and_b32 s3, s3, s19
	s_and_b32 s3, s0, s3
	s_delay_alu instid0(SALU_CYCLE_1) | instskip(SKIP_2) | instid1(SALU_CYCLE_1)
	s_xor_b32 s15, s3, -1
	s_mov_b32 s3, 0
	s_and_saveexec_b32 s16, s15
	s_xor_b32 s15, exec_lo, s16
	s_cbranch_execz .LBB2_27
; %bb.8:
	s_nor_b32 s2, s2, vcc_lo
                                        ; implicit-def: $vgpr4_vgpr5
	s_delay_alu instid0(SALU_CYCLE_1) | instskip(NEXT) | instid1(SALU_CYCLE_1)
	s_and_b32 s2, s0, s2
	s_xor_b32 s3, s2, -1
	s_mov_b32 s2, 0
	s_and_saveexec_b32 s16, s3
	s_delay_alu instid0(SALU_CYCLE_1)
	s_xor_b32 s16, exec_lo, s16
	s_cbranch_execz .LBB2_24
; %bb.9:
	s_nor_b32 s18, s19, s1
	s_mov_b32 s17, 0
                                        ; implicit-def: $sgpr2_sgpr3
	s_and_saveexec_b32 s20, s18
	s_delay_alu instid0(SALU_CYCLE_1)
	s_xor_b32 s18, exec_lo, s20
; %bb.10:
	s_mul_i32 s2, s4, s9
	s_lshl_b64 s[20:21], s[12:13], 2
	s_ashr_i32 s3, s2, 31
	s_ashr_i32 s23, s5, 31
	s_add_nc_u64 s[20:21], s[10:11], s[20:21]
	s_lshl_b64 s[2:3], s[2:3], 2
	s_mov_b32 s22, s5
	s_add_nc_u64 s[2:3], s[20:21], s[2:3]
	s_lshl_b64 s[20:21], s[22:23], 2
	s_mov_b32 s17, exec_lo
	s_add_nc_u64 s[2:3], s[2:3], s[20:21]
; %bb.11:
	s_or_saveexec_b32 s18, s18
	v_mov_b64_e32 v[4:5], s[2:3]
	s_xor_b32 exec_lo, exec_lo, s18
	s_cbranch_execz .LBB2_23
; %bb.12:
	s_nor_b32 s20, vcc_lo, s19
	s_mov_b32 s19, s17
                                        ; implicit-def: $sgpr2_sgpr3
	s_and_saveexec_b32 s21, s20
	s_delay_alu instid0(SALU_CYCLE_1)
	s_xor_b32 s20, exec_lo, s21
; %bb.13:
	s_mul_i32 s2, s4, s9
	s_lshl_b64 s[22:23], s[12:13], 2
	s_ashr_i32 s3, s2, 31
	s_add_nc_u64 s[22:23], s[10:11], s[22:23]
	s_lshl_b64 s[2:3], s[2:3], 2
	s_ashr_i32 s25, s7, 31
	s_mov_b32 s24, s7
	s_add_nc_u64 s[2:3], s[22:23], s[2:3]
	s_lshl_b64 s[22:23], s[24:25], 2
	s_or_b32 s19, s17, exec_lo
	s_add_nc_u64 s[2:3], s[2:3], s[22:23]
	s_delay_alu instid0(SALU_CYCLE_1)
	s_add_nc_u64 s[2:3], s[2:3], -4
; %bb.14:
	s_or_saveexec_b32 s20, s20
	v_mov_b64_e32 v[4:5], s[2:3]
	s_xor_b32 exec_lo, exec_lo, s20
	s_cbranch_execz .LBB2_22
; %bb.15:
	s_nor_b32 s1, s0, s1
	s_mov_b32 s21, s19
                                        ; implicit-def: $sgpr2_sgpr3
	s_and_saveexec_b32 s22, s1
	s_delay_alu instid0(SALU_CYCLE_1)
	s_xor_b32 s1, exec_lo, s22
; %bb.16:
	s_add_co_i32 s2, s6, -1
	s_lshl_b64 s[24:25], s[12:13], 2
	s_mul_i32 s22, s2, s9
	s_ashr_i32 s3, s5, 31
	s_ashr_i32 s23, s22, 31
	s_mov_b32 s2, s5
	s_add_nc_u64 s[24:25], s[10:11], s[24:25]
	s_lshl_b64 s[22:23], s[22:23], 2
	s_lshl_b64 s[2:3], s[2:3], 2
	s_add_nc_u64 s[22:23], s[24:25], s[22:23]
	s_or_b32 s21, s19, exec_lo
	s_add_nc_u64 s[2:3], s[22:23], s[2:3]
; %bb.17:
	s_or_saveexec_b32 s22, s1
	v_mov_b64_e32 v[4:5], s[2:3]
	s_xor_b32 exec_lo, exec_lo, s22
	s_cbranch_execz .LBB2_21
; %bb.18:
	s_nor_b32 s2, s0, vcc_lo
	s_mov_b32 s3, s21
                                        ; implicit-def: $sgpr0_sgpr1
	s_and_saveexec_b32 s23, s2
	s_delay_alu instid0(SALU_CYCLE_1)
	s_xor_b32 s2, exec_lo, s23
; %bb.19:
	s_add_co_i32 s3, s6, -1
	s_lshl_b64 s[0:1], s[12:13], 2
	s_mul_i32 s24, s3, s9
	s_add_nc_u64 s[0:1], s[10:11], s[0:1]
	s_ashr_i32 s25, s24, 31
	s_ashr_i32 s27, s7, 31
	s_mov_b32 s26, s7
	s_lshl_b64 s[24:25], s[24:25], 2
	s_lshl_b64 s[26:27], s[26:27], 2
	s_add_nc_u64 s[0:1], s[0:1], s[24:25]
	s_or_b32 s3, s21, exec_lo
	s_add_nc_u64 s[0:1], s[0:1], s[26:27]
	s_delay_alu instid0(SALU_CYCLE_1)
	s_add_nc_u64 s[0:1], s[0:1], -4
; %bb.20:
	s_or_b32 exec_lo, exec_lo, s2
	v_mov_b64_e32 v[4:5], s[0:1]
	s_and_not1_b32 s0, s21, exec_lo
	s_and_b32 s1, s3, exec_lo
	s_delay_alu instid0(SALU_CYCLE_1)
	s_or_b32 s21, s0, s1
.LBB2_21:
	s_or_b32 exec_lo, exec_lo, s22
	s_delay_alu instid0(SALU_CYCLE_1) | instskip(SKIP_1) | instid1(SALU_CYCLE_1)
	s_and_not1_b32 s0, s19, exec_lo
	s_and_b32 s1, s21, exec_lo
	s_or_b32 s19, s0, s1
.LBB2_22:
	s_or_b32 exec_lo, exec_lo, s20
	s_delay_alu instid0(SALU_CYCLE_1) | instskip(SKIP_1) | instid1(SALU_CYCLE_1)
	s_and_not1_b32 s0, s17, exec_lo
	s_and_b32 s1, s19, exec_lo
	s_or_b32 s17, s0, s1
.LBB2_23:
	s_or_b32 exec_lo, exec_lo, s18
	s_delay_alu instid0(SALU_CYCLE_1)
	s_and_b32 s2, s17, exec_lo
.LBB2_24:
	s_and_not1_saveexec_b32 s0, s16
; %bb.25:
	v_lshl_add_u64 v[4:5], v[2:3], 2, s[10:11]
	s_ashr_i32 s17, s7, 31
	s_mov_b32 s16, s7
	s_or_b32 s2, s2, exec_lo
	s_delay_alu instid0(VALU_DEP_1) | instskip(NEXT) | instid1(VALU_DEP_1)
	v_lshl_add_u64 v[4:5], s[16:17], 2, v[4:5]
	v_add_nc_u64_e32 v[4:5], -4, v[4:5]
; %bb.26:
	s_or_b32 exec_lo, exec_lo, s0
	s_delay_alu instid0(SALU_CYCLE_1)
	s_and_b32 s3, s2, exec_lo
.LBB2_27:
	s_and_not1_saveexec_b32 s0, s15
; %bb.28:
	v_lshl_add_u64 v[4:5], v[2:3], 2, s[10:11]
	s_ashr_i32 s17, s5, 31
	s_mov_b32 s16, s5
	s_or_b32 s3, s3, exec_lo
	s_delay_alu instid0(VALU_DEP_1)
	v_lshl_add_u64 v[4:5], s[16:17], 2, v[4:5]
; %bb.29:
	s_or_b32 exec_lo, exec_lo, s0
	s_delay_alu instid0(SALU_CYCLE_1)
	s_and_b32 s15, s3, exec_lo
.LBB2_30:
	s_and_not1_saveexec_b32 s0, s14
; %bb.31:
	s_add_co_i32 s1, s6, -1
	s_lshl_b64 s[6:7], s[12:13], 2
	s_mul_i32 s2, s1, s9
	s_add_nc_u64 s[6:7], s[10:11], s[6:7]
	s_ashr_i32 s3, s2, 31
	s_or_b32 s15, s15, exec_lo
	s_lshl_b64 s[2:3], s[2:3], 2
	s_delay_alu instid0(SALU_CYCLE_1) | instskip(NEXT) | instid1(SALU_CYCLE_1)
	s_add_nc_u64 s[2:3], s[6:7], s[2:3]
	v_lshl_add_u64 v[4:5], v[0:1], 2, s[2:3]
; %bb.32:
	s_or_b32 exec_lo, exec_lo, s0
	s_delay_alu instid0(SALU_CYCLE_1)
	s_and_b32 s15, s15, exec_lo
	s_and_not1_saveexec_b32 s0, s8
	s_cbranch_execz .LBB2_3
.LBB2_33:
	s_mul_i32 s2, s4, s9
	s_lshl_b64 s[4:5], s[12:13], 2
	s_ashr_i32 s3, s2, 31
	s_add_nc_u64 s[4:5], s[10:11], s[4:5]
	s_lshl_b64 s[2:3], s[2:3], 2
	s_or_b32 s15, s15, exec_lo
	s_add_nc_u64 s[2:3], s[4:5], s[2:3]
	s_delay_alu instid0(SALU_CYCLE_1) | instskip(SKIP_1) | instid1(SALU_CYCLE_1)
	v_lshl_add_u64 v[4:5], v[0:1], 2, s[2:3]
	s_or_b32 exec_lo, exec_lo, s0
	s_and_b32 exec_lo, exec_lo, s15
	s_cbranch_execnz .LBB2_4
	s_branch .LBB2_5
	.section	.rodata,"a",@progbits
	.p2align	6, 0x0
	.amdhsa_kernel _Z17zoom_out_edge_padPfiimiiii
		.amdhsa_group_segment_fixed_size 0
		.amdhsa_private_segment_fixed_size 0
		.amdhsa_kernarg_size 296
		.amdhsa_user_sgpr_count 2
		.amdhsa_user_sgpr_dispatch_ptr 0
		.amdhsa_user_sgpr_queue_ptr 0
		.amdhsa_user_sgpr_kernarg_segment_ptr 1
		.amdhsa_user_sgpr_dispatch_id 0
		.amdhsa_user_sgpr_kernarg_preload_length 0
		.amdhsa_user_sgpr_kernarg_preload_offset 0
		.amdhsa_user_sgpr_private_segment_size 0
		.amdhsa_wavefront_size32 1
		.amdhsa_uses_dynamic_stack 0
		.amdhsa_enable_private_segment 0
		.amdhsa_system_sgpr_workgroup_id_x 1
		.amdhsa_system_sgpr_workgroup_id_y 1
		.amdhsa_system_sgpr_workgroup_id_z 1
		.amdhsa_system_sgpr_workgroup_info 0
		.amdhsa_system_vgpr_workitem_id 1
		.amdhsa_next_free_vgpr 7
		.amdhsa_next_free_sgpr 28
		.amdhsa_named_barrier_count 0
		.amdhsa_reserve_vcc 1
		.amdhsa_float_round_mode_32 0
		.amdhsa_float_round_mode_16_64 0
		.amdhsa_float_denorm_mode_32 3
		.amdhsa_float_denorm_mode_16_64 3
		.amdhsa_fp16_overflow 0
		.amdhsa_memory_ordered 1
		.amdhsa_forward_progress 1
		.amdhsa_inst_pref_size 9
		.amdhsa_round_robin_scheduling 0
		.amdhsa_exception_fp_ieee_invalid_op 0
		.amdhsa_exception_fp_denorm_src 0
		.amdhsa_exception_fp_ieee_div_zero 0
		.amdhsa_exception_fp_ieee_overflow 0
		.amdhsa_exception_fp_ieee_underflow 0
		.amdhsa_exception_fp_ieee_inexact 0
		.amdhsa_exception_int_div_zero 0
	.end_amdhsa_kernel
	.text
.Lfunc_end2:
	.size	_Z17zoom_out_edge_padPfiimiiii, .Lfunc_end2-_Z17zoom_out_edge_padPfiimiiii
                                        ; -- End function
	.set _Z17zoom_out_edge_padPfiimiiii.num_vgpr, 7
	.set _Z17zoom_out_edge_padPfiimiiii.num_agpr, 0
	.set _Z17zoom_out_edge_padPfiimiiii.numbered_sgpr, 28
	.set _Z17zoom_out_edge_padPfiimiiii.num_named_barrier, 0
	.set _Z17zoom_out_edge_padPfiimiiii.private_seg_size, 0
	.set _Z17zoom_out_edge_padPfiimiiii.uses_vcc, 1
	.set _Z17zoom_out_edge_padPfiimiiii.uses_flat_scratch, 0
	.set _Z17zoom_out_edge_padPfiimiiii.has_dyn_sized_stack, 0
	.set _Z17zoom_out_edge_padPfiimiiii.has_recursion, 0
	.set _Z17zoom_out_edge_padPfiimiiii.has_indirect_call, 0
	.section	.AMDGPU.csdata,"",@progbits
; Kernel info:
; codeLenInByte = 1144
; TotalNumSgprs: 30
; NumVgprs: 7
; ScratchSize: 0
; MemoryBound: 0
; FloatMode: 240
; IeeeMode: 1
; LDSByteSize: 0 bytes/workgroup (compile time only)
; SGPRBlocks: 0
; VGPRBlocks: 0
; NumSGPRsForWavesPerEU: 30
; NumVGPRsForWavesPerEU: 7
; NamedBarCnt: 0
; Occupancy: 16
; WaveLimiterHint : 0
; COMPUTE_PGM_RSRC2:SCRATCH_EN: 0
; COMPUTE_PGM_RSRC2:USER_SGPR: 2
; COMPUTE_PGM_RSRC2:TRAP_HANDLER: 0
; COMPUTE_PGM_RSRC2:TGID_X_EN: 1
; COMPUTE_PGM_RSRC2:TGID_Y_EN: 1
; COMPUTE_PGM_RSRC2:TGID_Z_EN: 1
; COMPUTE_PGM_RSRC2:TIDIG_COMP_CNT: 1
	.text
	.p2alignl 7, 3214868480
	.fill 96, 4, 3214868480
	.section	.AMDGPU.gpr_maximums,"",@progbits
	.set amdgpu.max_num_vgpr, 0
	.set amdgpu.max_num_agpr, 0
	.set amdgpu.max_num_sgpr, 0
	.text
	.type	__hip_cuid_edd08129c5910554,@object ; @__hip_cuid_edd08129c5910554
	.section	.bss,"aw",@nobits
	.globl	__hip_cuid_edd08129c5910554
__hip_cuid_edd08129c5910554:
	.byte	0                               ; 0x0
	.size	__hip_cuid_edd08129c5910554, 1

	.ident	"AMD clang version 22.0.0git (https://github.com/RadeonOpenCompute/llvm-project roc-7.2.4 26084 f58b06dce1f9c15707c5f808fd002e18c2accf7e)"
	.section	".note.GNU-stack","",@progbits
	.addrsig
	.addrsig_sym __hip_cuid_edd08129c5910554
	.amdgpu_metadata
---
amdhsa.kernels:
  - .args:
      - .address_space:  global
        .offset:         0
        .size:           8
        .value_kind:     global_buffer
      - .address_space:  global
        .offset:         8
        .size:           8
        .value_kind:     global_buffer
      - .offset:         16
        .size:           4
        .value_kind:     by_value
      - .offset:         20
        .size:           4
        .value_kind:     by_value
      - .offset:         24
        .size:           4
        .value_kind:     by_value
      - .offset:         28
        .size:           4
        .value_kind:     by_value
      - .offset:         32
        .size:           8
        .value_kind:     by_value
      - .offset:         40
        .size:           4
        .value_kind:     by_value
      - .offset:         44
        .size:           4
        .value_kind:     by_value
      - .offset:         48
        .size:           4
        .value_kind:     by_value
      - .offset:         52
        .size:           4
        .value_kind:     by_value
      - .offset:         56
        .size:           4
        .value_kind:     hidden_block_count_x
      - .offset:         60
        .size:           4
        .value_kind:     hidden_block_count_y
      - .offset:         64
        .size:           4
        .value_kind:     hidden_block_count_z
      - .offset:         68
        .size:           2
        .value_kind:     hidden_group_size_x
      - .offset:         70
        .size:           2
        .value_kind:     hidden_group_size_y
      - .offset:         72
        .size:           2
        .value_kind:     hidden_group_size_z
      - .offset:         74
        .size:           2
        .value_kind:     hidden_remainder_x
      - .offset:         76
        .size:           2
        .value_kind:     hidden_remainder_y
      - .offset:         78
        .size:           2
        .value_kind:     hidden_remainder_z
      - .offset:         96
        .size:           8
        .value_kind:     hidden_global_offset_x
      - .offset:         104
        .size:           8
        .value_kind:     hidden_global_offset_y
      - .offset:         112
        .size:           8
        .value_kind:     hidden_global_offset_z
      - .offset:         120
        .size:           2
        .value_kind:     hidden_grid_dims
      - .offset:         176
        .size:           4
        .value_kind:     hidden_dynamic_lds_size
    .group_segment_fixed_size: 0
    .kernarg_segment_align: 8
    .kernarg_segment_size: 312
    .language:       OpenCL C
    .language_version:
      - 2
      - 0
    .max_flat_workgroup_size: 1024
    .name:           _Z14zoom_in_kernelPKfPfiiiimiiii
    .private_segment_fixed_size: 0
    .sgpr_count:     30
    .sgpr_spill_count: 0
    .symbol:         _Z14zoom_in_kernelPKfPfiiiimiiii.kd
    .uniform_work_group_size: 1
    .uses_dynamic_stack: false
    .vgpr_count:     16
    .vgpr_spill_count: 0
    .wavefront_size: 32
  - .args:
      - .address_space:  global
        .offset:         0
        .size:           8
        .value_kind:     global_buffer
      - .address_space:  global
        .offset:         8
        .size:           8
        .value_kind:     global_buffer
      - .offset:         16
        .size:           4
        .value_kind:     by_value
      - .offset:         20
        .size:           4
        .value_kind:     by_value
      - .offset:         24
        .size:           4
        .value_kind:     by_value
      - .offset:         28
        .size:           4
        .value_kind:     by_value
      - .offset:         32
        .size:           8
        .value_kind:     by_value
      - .offset:         40
        .size:           4
        .value_kind:     by_value
      - .offset:         44
        .size:           4
        .value_kind:     by_value
      - .offset:         48
        .size:           4
        .value_kind:     by_value
      - .offset:         52
        .size:           4
        .value_kind:     by_value
      - .offset:         56
        .size:           4
        .value_kind:     hidden_block_count_x
      - .offset:         60
        .size:           4
        .value_kind:     hidden_block_count_y
      - .offset:         64
        .size:           4
        .value_kind:     hidden_block_count_z
      - .offset:         68
        .size:           2
        .value_kind:     hidden_group_size_x
      - .offset:         70
        .size:           2
        .value_kind:     hidden_group_size_y
      - .offset:         72
        .size:           2
        .value_kind:     hidden_group_size_z
      - .offset:         74
        .size:           2
        .value_kind:     hidden_remainder_x
      - .offset:         76
        .size:           2
        .value_kind:     hidden_remainder_y
      - .offset:         78
        .size:           2
        .value_kind:     hidden_remainder_z
      - .offset:         96
        .size:           8
        .value_kind:     hidden_global_offset_x
      - .offset:         104
        .size:           8
        .value_kind:     hidden_global_offset_y
      - .offset:         112
        .size:           8
        .value_kind:     hidden_global_offset_z
      - .offset:         120
        .size:           2
        .value_kind:     hidden_grid_dims
      - .offset:         176
        .size:           4
        .value_kind:     hidden_dynamic_lds_size
    .group_segment_fixed_size: 0
    .kernarg_segment_align: 8
    .kernarg_segment_size: 312
    .language:       OpenCL C
    .language_version:
      - 2
      - 0
    .max_flat_workgroup_size: 1024
    .name:           _Z15zoom_out_kernelPKfPfiiiimiiii
    .private_segment_fixed_size: 0
    .sgpr_count:     30
    .sgpr_spill_count: 0
    .symbol:         _Z15zoom_out_kernelPKfPfiiiimiiii.kd
    .uniform_work_group_size: 1
    .uses_dynamic_stack: false
    .vgpr_count:     16
    .vgpr_spill_count: 0
    .wavefront_size: 32
  - .args:
      - .address_space:  global
        .offset:         0
        .size:           8
        .value_kind:     global_buffer
      - .offset:         8
        .size:           4
        .value_kind:     by_value
      - .offset:         12
        .size:           4
        .value_kind:     by_value
      - .offset:         16
        .size:           8
        .value_kind:     by_value
      - .offset:         24
        .size:           4
        .value_kind:     by_value
      - .offset:         28
        .size:           4
        .value_kind:     by_value
      - .offset:         32
        .size:           4
        .value_kind:     by_value
      - .offset:         36
        .size:           4
        .value_kind:     by_value
      - .offset:         40
        .size:           4
        .value_kind:     hidden_block_count_x
      - .offset:         44
        .size:           4
        .value_kind:     hidden_block_count_y
      - .offset:         48
        .size:           4
        .value_kind:     hidden_block_count_z
      - .offset:         52
        .size:           2
        .value_kind:     hidden_group_size_x
      - .offset:         54
        .size:           2
        .value_kind:     hidden_group_size_y
      - .offset:         56
        .size:           2
        .value_kind:     hidden_group_size_z
      - .offset:         58
        .size:           2
        .value_kind:     hidden_remainder_x
      - .offset:         60
        .size:           2
        .value_kind:     hidden_remainder_y
      - .offset:         62
        .size:           2
        .value_kind:     hidden_remainder_z
      - .offset:         80
        .size:           8
        .value_kind:     hidden_global_offset_x
      - .offset:         88
        .size:           8
        .value_kind:     hidden_global_offset_y
      - .offset:         96
        .size:           8
        .value_kind:     hidden_global_offset_z
      - .offset:         104
        .size:           2
        .value_kind:     hidden_grid_dims
    .group_segment_fixed_size: 0
    .kernarg_segment_align: 8
    .kernarg_segment_size: 296
    .language:       OpenCL C
    .language_version:
      - 2
      - 0
    .max_flat_workgroup_size: 1024
    .name:           _Z17zoom_out_edge_padPfiimiiii
    .private_segment_fixed_size: 0
    .sgpr_count:     30
    .sgpr_spill_count: 0
    .symbol:         _Z17zoom_out_edge_padPfiimiiii.kd
    .uniform_work_group_size: 1
    .uses_dynamic_stack: false
    .vgpr_count:     7
    .vgpr_spill_count: 0
    .wavefront_size: 32
amdhsa.target:   amdgcn-amd-amdhsa--gfx1250
amdhsa.version:
  - 1
  - 2
...

	.end_amdgpu_metadata
